;; amdgpu-corpus repo=llvm/llvm-project kind=harvested arch=n/a opt=n/a
// NOTE: Assertions have been autogenerated by utils/update_mc_test_checks.py UTC_ARGS: --unique --sort --version 6
// RUN: llvm-mc -triple=amdgcn -show-encoding %s | FileCheck -check-prefix=SI %s
// RUN: llvm-mc -triple=amdgcn -mcpu=tonga -show-encoding %s | FileCheck -check-prefix=GFX89 %s
// RUN: llvm-mc -triple=amdgcn -mcpu=gfx900 -show-encoding %s | FileCheck -check-prefix=GFX89 %s
// RUN: llvm-mc -triple=amdgcn -mcpu=gfx1010 -show-encoding %s | FileCheck -check-prefix=GFX10 %s

// Check format without comma between target export and first data
exp mrt0 v4, v3, v2, v1 done vm
// GFX10: exp mrt0, v4, v3, v2, v1 done vm        ; encoding: [0x0f,0x18,0x00,0xf8,0x04,0x03,0x02,0x01]
// GFX89: exp mrt0, v4, v3, v2, v1 done vm        ; encoding: [0x0f,0x18,0x00,0xc4,0x04,0x03,0x02,0x01]
// SI: exp mrt0, v4, v3, v2, v1 done vm        ; encoding: [0x0f,0x18,0x00,0xf8,0x04,0x03,0x02,0x01]

exp mrt0 v4, v3, v2, v1 vm
// GFX10: exp mrt0, v4, v3, v2, v1 vm             ; encoding: [0x0f,0x10,0x00,0xf8,0x04,0x03,0x02,0x01]
// GFX89: exp mrt0, v4, v3, v2, v1 vm             ; encoding: [0x0f,0x10,0x00,0xc4,0x04,0x03,0x02,0x01]
// SI: exp mrt0, v4, v3, v2, v1 vm             ; encoding: [0x0f,0x10,0x00,0xf8,0x04,0x03,0x02,0x01]

// Check format with comma between target export and first data
exp mrt0, v4, v3, v2, v1 done vm
// GFX10: exp mrt0, v4, v3, v2, v1 done vm        ; encoding: [0x0f,0x18,0x00,0xf8,0x04,0x03,0x02,0x01]
// GFX89: exp mrt0, v4, v3, v2, v1 done vm        ; encoding: [0x0f,0x18,0x00,0xc4,0x04,0x03,0x02,0x01]
// SI: exp mrt0, v4, v3, v2, v1 done vm        ; encoding: [0x0f,0x18,0x00,0xf8,0x04,0x03,0x02,0x01]

// Check format without comma between target export and first data
exp mrtz off, off, v7, v7 compr
// GFX10: exp mrtz, off, off, v7, v7 compr        ; encoding: [0x8c,0x04,0x00,0xf8,0x00,0x07,0x00,0x00]
// GFX89: exp mrtz, off, off, v7, v7 compr        ; encoding: [0x8c,0x04,0x00,0xc4,0x00,0x07,0x00,0x00]
// SI: exp mrtz, off, off, v7, v7 compr        ; encoding: [0x8c,0x04,0x00,0xf8,0x00,0x07,0x00,0x00]

// Check format with comma between target export and first data
exp mrtz, off, off, v7, v7 compr
// GFX10: exp mrtz, off, off, v7, v7 compr        ; encoding: [0x8c,0x04,0x00,0xf8,0x00,0x07,0x00,0x00]
// GFX89: exp mrtz, off, off, v7, v7 compr        ; encoding: [0x8c,0x04,0x00,0xc4,0x00,0x07,0x00,0x00]
// SI: exp mrtz, off, off, v7, v7 compr        ; encoding: [0x8c,0x04,0x00,0xf8,0x00,0x07,0x00,0x00]

exp mrtz, v3, v3, off, off compr
// GFX10: exp mrtz, v3, v3, off, off compr        ; encoding: [0x83,0x04,0x00,0xf8,0x03,0x00,0x00,0x00]
// GFX89: exp mrtz, v3, v3, off, off compr        ; encoding: [0x83,0x04,0x00,0xc4,0x03,0x00,0x00,0x00]
// SI: exp mrtz, v3, v3, off, off compr        ; encoding: [0x83,0x04,0x00,0xf8,0x03,0x00,0x00,0x00]

exp mrtz, v3, v3, v7, v7 compr
// GFX10: exp mrtz, v3, v3, v7, v7 compr          ; encoding: [0x8f,0x04,0x00,0xf8,0x03,0x07,0x00,0x00]
// GFX89: exp mrtz, v3, v3, v7, v7 compr          ; encoding: [0x8f,0x04,0x00,0xc4,0x03,0x07,0x00,0x00]
// SI: exp mrtz, v3, v3, v7, v7 compr          ; encoding: [0x8f,0x04,0x00,0xf8,0x03,0x07,0x00,0x00]

exp null v4, v3, v2, v1
// GFX10: exp null, v4, v3, v2, v1                ; encoding: [0x9f,0x00,0x00,0xf8,0x04,0x03,0x02,0x01]
// GFX89: exp null, v4, v3, v2, v1                ; encoding: [0x9f,0x00,0x00,0xc4,0x04,0x03,0x02,0x01]
// SI: exp null, v4, v3, v2, v1                ; encoding: [0x9f,0x00,0x00,0xf8,0x04,0x03,0x02,0x01]

exp null v4, v3, v2, v1 done
// GFX10: exp null, v4, v3, v2, v1 done           ; encoding: [0x9f,0x08,0x00,0xf8,0x04,0x03,0x02,0x01]
// GFX89: exp null, v4, v3, v2, v1 done           ; encoding: [0x9f,0x08,0x00,0xc4,0x04,0x03,0x02,0x01]
// SI: exp null, v4, v3, v2, v1 done           ; encoding: [0x9f,0x08,0x00,0xf8,0x04,0x03,0x02,0x01]

exp param0 v4, v3, v2, v1
// GFX10: exp param0, v4, v3, v2, v1              ; encoding: [0x0f,0x02,0x00,0xf8,0x04,0x03,0x02,0x01]
// GFX89: exp param0, v4, v3, v2, v1              ; encoding: [0x0f,0x02,0x00,0xc4,0x04,0x03,0x02,0x01]
// SI: exp param0, v4, v3, v2, v1              ; encoding: [0x0f,0x02,0x00,0xf8,0x04,0x03,0x02,0x01]

exp param0 v4, v3, v2, v1 done
// GFX10: exp param0, v4, v3, v2, v1 done         ; encoding: [0x0f,0x0a,0x00,0xf8,0x04,0x03,0x02,0x01]
// GFX89: exp param0, v4, v3, v2, v1 done         ; encoding: [0x0f,0x0a,0x00,0xc4,0x04,0x03,0x02,0x01]
// SI: exp param0, v4, v3, v2, v1 done         ; encoding: [0x0f,0x0a,0x00,0xf8,0x04,0x03,0x02,0x01]

exp param31 v4, v3, v2, v1
// GFX10: exp param31, v4, v3, v2, v1             ; encoding: [0xff,0x03,0x00,0xf8,0x04,0x03,0x02,0x01]
// GFX89: exp param31, v4, v3, v2, v1             ; encoding: [0xff,0x03,0x00,0xc4,0x04,0x03,0x02,0x01]
// SI: exp param31, v4, v3, v2, v1             ; encoding: [0xff,0x03,0x00,0xf8,0x04,0x03,0x02,0x01]

exp param31 v4, v3, v2, v1 done
// GFX10: exp param31, v4, v3, v2, v1 done        ; encoding: [0xff,0x0b,0x00,0xf8,0x04,0x03,0x02,0x01]
// GFX89: exp param31, v4, v3, v2, v1 done        ; encoding: [0xff,0x0b,0x00,0xc4,0x04,0x03,0x02,0x01]
// SI: exp param31, v4, v3, v2, v1 done        ; encoding: [0xff,0x0b,0x00,0xf8,0x04,0x03,0x02,0x01]
